;; amdgpu-corpus repo=ROCm/rocFFT kind=compiled arch=gfx1030 opt=O3
	.text
	.amdgcn_target "amdgcn-amd-amdhsa--gfx1030"
	.amdhsa_code_object_version 6
	.protected	fft_rtc_fwd_len160_factors_16_10_wgs_256_tpt_16_halfLds_sp_ip_CI_sbrr_dirReg ; -- Begin function fft_rtc_fwd_len160_factors_16_10_wgs_256_tpt_16_halfLds_sp_ip_CI_sbrr_dirReg
	.globl	fft_rtc_fwd_len160_factors_16_10_wgs_256_tpt_16_halfLds_sp_ip_CI_sbrr_dirReg
	.p2align	8
	.type	fft_rtc_fwd_len160_factors_16_10_wgs_256_tpt_16_halfLds_sp_ip_CI_sbrr_dirReg,@function
fft_rtc_fwd_len160_factors_16_10_wgs_256_tpt_16_halfLds_sp_ip_CI_sbrr_dirReg: ; @fft_rtc_fwd_len160_factors_16_10_wgs_256_tpt_16_halfLds_sp_ip_CI_sbrr_dirReg
; %bb.0:
	s_clause 0x2
	s_load_dwordx2 s[14:15], s[4:5], 0x18
	s_load_dwordx4 s[8:11], s[4:5], 0x0
	s_load_dwordx2 s[2:3], s[4:5], 0x50
	v_lshrrev_b32_e32 v36, 4, v0
	v_mov_b32_e32 v1, 0
	v_mov_b32_e32 v10, 0
	;; [unrolled: 1-line block ×3, first 2 shown]
	v_lshl_or_b32 v3, s6, 4, v36
	v_mov_b32_e32 v4, v1
	s_waitcnt lgkmcnt(0)
	s_load_dwordx2 s[12:13], s[14:15], 0x0
	v_cmp_lt_u64_e64 s0, s[10:11], 2
	s_and_b32 vcc_lo, exec_lo, s0
	s_cbranch_vccnz .LBB0_8
; %bb.1:
	s_load_dwordx2 s[0:1], s[4:5], 0x10
	v_mov_b32_e32 v10, 0
	s_add_u32 s6, s14, 8
	v_mov_b32_e32 v11, 0
	s_addc_u32 s7, s15, 0
	s_mov_b64 s[18:19], 1
	s_waitcnt lgkmcnt(0)
	s_add_u32 s16, s0, 8
	s_addc_u32 s17, s1, 0
.LBB0_2:                                ; =>This Inner Loop Header: Depth=1
	s_load_dwordx2 s[20:21], s[16:17], 0x0
                                        ; implicit-def: $vgpr13_vgpr14
	s_mov_b32 s0, exec_lo
	s_waitcnt lgkmcnt(0)
	v_or_b32_e32 v2, s21, v4
	v_cmpx_ne_u64_e32 0, v[1:2]
	s_xor_b32 s1, exec_lo, s0
	s_cbranch_execz .LBB0_4
; %bb.3:                                ;   in Loop: Header=BB0_2 Depth=1
	v_cvt_f32_u32_e32 v2, s20
	v_cvt_f32_u32_e32 v5, s21
	s_sub_u32 s0, 0, s20
	s_subb_u32 s22, 0, s21
	v_fmac_f32_e32 v2, 0x4f800000, v5
	v_rcp_f32_e32 v2, v2
	v_mul_f32_e32 v2, 0x5f7ffffc, v2
	v_mul_f32_e32 v5, 0x2f800000, v2
	v_trunc_f32_e32 v5, v5
	v_fmac_f32_e32 v2, 0xcf800000, v5
	v_cvt_u32_f32_e32 v5, v5
	v_cvt_u32_f32_e32 v2, v2
	v_mul_lo_u32 v6, s0, v5
	v_mul_hi_u32 v7, s0, v2
	v_mul_lo_u32 v8, s22, v2
	v_add_nc_u32_e32 v6, v7, v6
	v_mul_lo_u32 v7, s0, v2
	v_add_nc_u32_e32 v6, v6, v8
	v_mul_hi_u32 v8, v2, v7
	v_mul_lo_u32 v9, v2, v6
	v_mul_hi_u32 v12, v2, v6
	v_mul_hi_u32 v13, v5, v7
	v_mul_lo_u32 v7, v5, v7
	v_mul_hi_u32 v14, v5, v6
	v_mul_lo_u32 v6, v5, v6
	v_add_co_u32 v8, vcc_lo, v8, v9
	v_add_co_ci_u32_e32 v9, vcc_lo, 0, v12, vcc_lo
	v_add_co_u32 v7, vcc_lo, v8, v7
	v_add_co_ci_u32_e32 v7, vcc_lo, v9, v13, vcc_lo
	v_add_co_ci_u32_e32 v8, vcc_lo, 0, v14, vcc_lo
	v_add_co_u32 v6, vcc_lo, v7, v6
	v_add_co_ci_u32_e32 v7, vcc_lo, 0, v8, vcc_lo
	v_add_co_u32 v2, vcc_lo, v2, v6
	v_add_co_ci_u32_e32 v5, vcc_lo, v5, v7, vcc_lo
	v_mul_hi_u32 v6, s0, v2
	v_mul_lo_u32 v8, s22, v2
	v_mul_lo_u32 v7, s0, v5
	v_add_nc_u32_e32 v6, v6, v7
	v_mul_lo_u32 v7, s0, v2
	v_add_nc_u32_e32 v6, v6, v8
	v_mul_hi_u32 v8, v2, v7
	v_mul_lo_u32 v9, v2, v6
	v_mul_hi_u32 v12, v2, v6
	v_mul_hi_u32 v13, v5, v7
	v_mul_lo_u32 v7, v5, v7
	v_mul_hi_u32 v14, v5, v6
	v_mul_lo_u32 v6, v5, v6
	v_add_co_u32 v8, vcc_lo, v8, v9
	v_add_co_ci_u32_e32 v9, vcc_lo, 0, v12, vcc_lo
	v_add_co_u32 v7, vcc_lo, v8, v7
	v_add_co_ci_u32_e32 v7, vcc_lo, v9, v13, vcc_lo
	v_add_co_ci_u32_e32 v8, vcc_lo, 0, v14, vcc_lo
	v_add_co_u32 v6, vcc_lo, v7, v6
	v_add_co_ci_u32_e32 v7, vcc_lo, 0, v8, vcc_lo
	v_add_co_u32 v2, vcc_lo, v2, v6
	v_add_co_ci_u32_e32 v9, vcc_lo, v5, v7, vcc_lo
	v_mul_hi_u32 v14, v3, v2
	v_mad_u64_u32 v[7:8], null, v4, v2, 0
	v_mad_u64_u32 v[5:6], null, v3, v9, 0
	;; [unrolled: 1-line block ×3, first 2 shown]
	v_add_co_u32 v2, vcc_lo, v14, v5
	v_add_co_ci_u32_e32 v5, vcc_lo, 0, v6, vcc_lo
	v_add_co_u32 v2, vcc_lo, v2, v7
	v_add_co_ci_u32_e32 v2, vcc_lo, v5, v8, vcc_lo
	v_add_co_ci_u32_e32 v5, vcc_lo, 0, v13, vcc_lo
	v_add_co_u32 v2, vcc_lo, v2, v12
	v_add_co_ci_u32_e32 v7, vcc_lo, 0, v5, vcc_lo
	v_mul_lo_u32 v8, s21, v2
	v_mad_u64_u32 v[5:6], null, s20, v2, 0
	v_mul_lo_u32 v9, s20, v7
	v_sub_co_u32 v5, vcc_lo, v3, v5
	v_add3_u32 v6, v6, v9, v8
	v_sub_nc_u32_e32 v8, v4, v6
	v_subrev_co_ci_u32_e64 v8, s0, s21, v8, vcc_lo
	v_add_co_u32 v9, s0, v2, 2
	v_add_co_ci_u32_e64 v12, s0, 0, v7, s0
	v_sub_co_u32 v13, s0, v5, s20
	v_sub_co_ci_u32_e32 v6, vcc_lo, v4, v6, vcc_lo
	v_subrev_co_ci_u32_e64 v8, s0, 0, v8, s0
	v_cmp_le_u32_e32 vcc_lo, s20, v13
	v_cmp_eq_u32_e64 s0, s21, v6
	v_cndmask_b32_e64 v13, 0, -1, vcc_lo
	v_cmp_le_u32_e32 vcc_lo, s21, v8
	v_cndmask_b32_e64 v14, 0, -1, vcc_lo
	v_cmp_le_u32_e32 vcc_lo, s20, v5
	;; [unrolled: 2-line block ×3, first 2 shown]
	v_cndmask_b32_e64 v15, 0, -1, vcc_lo
	v_cmp_eq_u32_e32 vcc_lo, s21, v8
	v_cndmask_b32_e64 v5, v15, v5, s0
	v_cndmask_b32_e32 v8, v14, v13, vcc_lo
	v_add_co_u32 v13, vcc_lo, v2, 1
	v_add_co_ci_u32_e32 v14, vcc_lo, 0, v7, vcc_lo
	v_cmp_ne_u32_e32 vcc_lo, 0, v8
	v_cndmask_b32_e32 v6, v14, v12, vcc_lo
	v_cndmask_b32_e32 v8, v13, v9, vcc_lo
	v_cmp_ne_u32_e32 vcc_lo, 0, v5
	v_cndmask_b32_e32 v14, v7, v6, vcc_lo
	v_cndmask_b32_e32 v13, v2, v8, vcc_lo
.LBB0_4:                                ;   in Loop: Header=BB0_2 Depth=1
	s_andn2_saveexec_b32 s0, s1
	s_cbranch_execz .LBB0_6
; %bb.5:                                ;   in Loop: Header=BB0_2 Depth=1
	v_cvt_f32_u32_e32 v2, s20
	s_sub_i32 s1, 0, s20
	v_mov_b32_e32 v14, v1
	v_rcp_iflag_f32_e32 v2, v2
	v_mul_f32_e32 v2, 0x4f7ffffe, v2
	v_cvt_u32_f32_e32 v2, v2
	v_mul_lo_u32 v5, s1, v2
	v_mul_hi_u32 v5, v2, v5
	v_add_nc_u32_e32 v2, v2, v5
	v_mul_hi_u32 v2, v3, v2
	v_mul_lo_u32 v5, v2, s20
	v_add_nc_u32_e32 v6, 1, v2
	v_sub_nc_u32_e32 v5, v3, v5
	v_subrev_nc_u32_e32 v7, s20, v5
	v_cmp_le_u32_e32 vcc_lo, s20, v5
	v_cndmask_b32_e32 v5, v5, v7, vcc_lo
	v_cndmask_b32_e32 v2, v2, v6, vcc_lo
	v_cmp_le_u32_e32 vcc_lo, s20, v5
	v_add_nc_u32_e32 v6, 1, v2
	v_cndmask_b32_e32 v13, v2, v6, vcc_lo
.LBB0_6:                                ;   in Loop: Header=BB0_2 Depth=1
	s_or_b32 exec_lo, exec_lo, s0
	s_load_dwordx2 s[0:1], s[6:7], 0x0
	v_mul_lo_u32 v2, v14, s20
	v_mul_lo_u32 v7, v13, s21
	v_mad_u64_u32 v[5:6], null, v13, s20, 0
	s_add_u32 s18, s18, 1
	s_addc_u32 s19, s19, 0
	s_add_u32 s6, s6, 8
	s_addc_u32 s7, s7, 0
	;; [unrolled: 2-line block ×3, first 2 shown]
	v_add3_u32 v2, v6, v7, v2
	v_sub_co_u32 v3, vcc_lo, v3, v5
	v_sub_co_ci_u32_e32 v2, vcc_lo, v4, v2, vcc_lo
	s_waitcnt lgkmcnt(0)
	v_mul_lo_u32 v4, s1, v3
	v_mul_lo_u32 v2, s0, v2
	v_mad_u64_u32 v[10:11], null, s0, v3, v[10:11]
	v_cmp_ge_u64_e64 s0, s[18:19], s[10:11]
	s_and_b32 vcc_lo, exec_lo, s0
	v_add3_u32 v11, v4, v11, v2
	s_cbranch_vccnz .LBB0_9
; %bb.7:                                ;   in Loop: Header=BB0_2 Depth=1
	v_mov_b32_e32 v3, v13
	v_mov_b32_e32 v4, v14
	s_branch .LBB0_2
.LBB0_8:
	v_mov_b32_e32 v14, v4
	v_mov_b32_e32 v13, v3
.LBB0_9:
	s_lshl_b64 s[0:1], s[10:11], 3
	v_and_b32_e32 v35, 15, v0
	s_add_u32 s0, s14, s0
	s_addc_u32 s1, s15, s1
	v_mov_b32_e32 v3, 0
	s_load_dwordx2 s[0:1], s[0:1], 0x0
	s_load_dwordx2 s[4:5], s[4:5], 0x20
	v_mov_b32_e32 v37, 0
	v_mov_b32_e32 v2, 0
	;; [unrolled: 1-line block ×14, first 2 shown]
                                        ; implicit-def: $vgpr26
                                        ; implicit-def: $vgpr30
                                        ; implicit-def: $vgpr22
                                        ; implicit-def: $vgpr34
                                        ; implicit-def: $vgpr28
                                        ; implicit-def: $vgpr32
                                        ; implicit-def: $vgpr24
	s_waitcnt lgkmcnt(0)
	v_mul_lo_u32 v15, s0, v14
	v_mul_lo_u32 v21, s1, v13
	v_mad_u64_u32 v[0:1], null, s0, v13, v[10:11]
	v_cmp_gt_u64_e32 vcc_lo, s[4:5], v[13:14]
	v_mov_b32_e32 v11, 0
                                        ; implicit-def: $vgpr14
	v_add3_u32 v1, v21, v1, v15
	v_mov_b32_e32 v15, 0
	s_and_saveexec_b32 s1, vcc_lo
	s_cbranch_execz .LBB0_13
; %bb.10:
	v_cmp_gt_u32_e64 s0, 10, v35
	v_mov_b32_e32 v15, 0
	v_mov_b32_e32 v16, 0
	;; [unrolled: 1-line block ×16, first 2 shown]
                                        ; implicit-def: $vgpr23
                                        ; implicit-def: $vgpr31
                                        ; implicit-def: $vgpr27
                                        ; implicit-def: $vgpr33
                                        ; implicit-def: $vgpr21
                                        ; implicit-def: $vgpr29
                                        ; implicit-def: $vgpr25
                                        ; implicit-def: $vgpr13
	s_and_saveexec_b32 s4, s0
	s_cbranch_execz .LBB0_12
; %bb.11:
	v_add_nc_u32_e32 v13, 10, v35
	v_mad_u64_u32 v[2:3], null, s12, v35, 0
	v_add_nc_u32_e32 v15, 20, v35
	v_lshlrev_b64 v[6:7], 3, v[0:1]
	v_mad_u64_u32 v[4:5], null, s12, v13, 0
	v_add_nc_u32_e32 v16, 30, v35
	v_mad_u64_u32 v[8:9], null, s12, v15, 0
	v_add_co_u32 v45, s0, s2, v6
	v_add_co_ci_u32_e64 v46, s0, s3, v7, s0
	v_mad_u64_u32 v[10:11], null, s13, v35, v[3:4]
	v_mov_b32_e32 v3, v5
	v_mad_u64_u32 v[11:12], null, s12, v16, 0
	v_add_nc_u32_e32 v17, 40, v35
	v_add_nc_u32_e32 v21, 50, v35
	v_mad_u64_u32 v[13:14], null, s13, v13, v[3:4]
	v_mad_u64_u32 v[6:7], null, s13, v15, v[9:10]
	v_mov_b32_e32 v3, v10
	v_mov_b32_e32 v7, v12
	v_add_nc_u32_e32 v25, 0x46, v35
	v_or_b32_e32 v26, 0x50, v35
	v_mov_b32_e32 v5, v13
	v_lshlrev_b64 v[2:3], 3, v[2:3]
	v_mov_b32_e32 v9, v6
	v_mad_u64_u32 v[15:16], null, s13, v16, v[7:8]
	v_lshlrev_b64 v[4:5], 3, v[4:5]
	v_mad_u64_u32 v[13:14], null, s12, v17, 0
	v_add_co_u32 v2, s0, v45, v2
	v_lshlrev_b64 v[7:8], 3, v[8:9]
	v_add_co_ci_u32_e64 v3, s0, v46, v3, s0
	v_add_co_u32 v4, s0, v45, v4
	v_add_co_ci_u32_e64 v5, s0, v46, v5, s0
	v_mov_b32_e32 v12, v15
	v_add_co_u32 v15, s0, v45, v7
	v_mov_b32_e32 v6, v14
	v_add_co_ci_u32_e64 v16, s0, v46, v8, s0
	v_add_nc_u32_e32 v8, 60, v35
	v_add_nc_u32_e32 v29, 0x5a, v35
	v_mad_u64_u32 v[9:10], null, s13, v17, v[6:7]
	v_lshlrev_b64 v[6:7], 3, v[11:12]
	v_mad_u64_u32 v[10:11], null, s12, v21, 0
	v_mad_u64_u32 v[17:18], null, s12, v8, 0
	v_add_nc_u32_e32 v30, 0x64, v35
	v_add_co_u32 v19, s0, v45, v6
	v_add_co_ci_u32_e64 v20, s0, v46, v7, s0
	v_mov_b32_e32 v6, v11
	v_mov_b32_e32 v7, v18
	;; [unrolled: 1-line block ×3, first 2 shown]
	v_mad_u64_u32 v[27:28], null, s12, v30, 0
	v_add_nc_u32_e32 v32, 0x78, v35
	v_mad_u64_u32 v[21:22], null, s13, v21, v[6:7]
	v_mad_u64_u32 v[22:23], null, s13, v8, v[7:8]
	;; [unrolled: 1-line block ×3, first 2 shown]
	v_lshlrev_b64 v[12:13], 3, v[13:14]
	s_clause 0x3
	global_load_dwordx2 v[2:3], v[2:3], off
	global_load_dwordx2 v[6:7], v[4:5], off
	;; [unrolled: 1-line block ×4, first 2 shown]
	v_mov_b32_e32 v11, v21
	v_add_nc_u32_e32 v37, 0x82, v35
	v_mov_b32_e32 v18, v22
	v_mad_u64_u32 v[21:22], null, s12, v26, 0
	v_mov_b32_e32 v14, v24
	v_lshlrev_b64 v[10:11], 3, v[10:11]
	v_add_co_u32 v12, s0, v45, v12
	v_add_co_ci_u32_e64 v13, s0, v46, v13, s0
	v_mad_u64_u32 v[14:15], null, s13, v25, v[14:15]
	v_lshlrev_b64 v[15:16], 3, v[17:18]
	v_add_co_u32 v17, s0, v45, v10
	v_mov_b32_e32 v10, v22
	v_add_co_ci_u32_e64 v18, s0, v46, v11, s0
	v_mov_b32_e32 v24, v14
	v_add_co_u32 v14, s0, v45, v15
	v_mad_u64_u32 v[10:11], null, s13, v26, v[10:11]
	v_lshlrev_b64 v[19:20], 3, v[23:24]
	v_mad_u64_u32 v[23:24], null, s12, v29, 0
	v_add_co_ci_u32_e64 v15, s0, v46, v16, s0
	v_add_nc_u32_e32 v43, 0x96, v35
	v_add_co_u32 v25, s0, v45, v19
	v_add_co_ci_u32_e64 v26, s0, v46, v20, s0
	v_mov_b32_e32 v11, v24
	v_mov_b32_e32 v22, v10
	v_mad_u64_u32 v[10:11], null, s13, v29, v[11:12]
	s_clause 0x3
	global_load_dwordx2 v[11:12], v[12:13], off
	global_load_dwordx2 v[17:18], v[17:18], off
	;; [unrolled: 1-line block ×4, first 2 shown]
	v_add_nc_u32_e32 v29, 0x6e, v35
	v_mov_b32_e32 v13, v28
	v_lshlrev_b64 v[21:22], 3, v[21:22]
	v_mad_u64_u32 v[25:26], null, s12, v29, 0
	v_mad_u64_u32 v[13:14], null, s13, v30, v[13:14]
	v_mov_b32_e32 v24, v10
	v_add_co_u32 v21, s0, v45, v21
	v_add_co_ci_u32_e64 v22, s0, v46, v22, s0
	v_mov_b32_e32 v10, v26
	v_mov_b32_e32 v28, v13
	v_mad_u64_u32 v[13:14], null, s12, v32, 0
	v_lshlrev_b64 v[23:24], 3, v[23:24]
	v_lshlrev_b64 v[27:28], 3, v[27:28]
	v_add_co_u32 v23, s0, v45, v23
	v_add_co_ci_u32_e64 v24, s0, v46, v24, s0
	v_add_co_u32 v27, s0, v45, v27
	v_add_co_ci_u32_e64 v28, s0, v46, v28, s0
	s_waitcnt vmcnt(3)
	v_mad_u64_u32 v[29:30], null, s13, v29, v[10:11]
	v_mad_u64_u32 v[30:31], null, s12, v37, 0
	v_mov_b32_e32 v10, v14
	v_mov_b32_e32 v26, v29
	v_add_nc_u32_e32 v29, 0x8c, v35
	v_mad_u64_u32 v[32:33], null, s13, v32, v[10:11]
	v_mov_b32_e32 v10, v31
	v_lshlrev_b64 v[25:26], 3, v[25:26]
	v_mad_u64_u32 v[33:34], null, s12, v29, 0
	v_mad_u64_u32 v[37:38], null, s13, v37, v[10:11]
	;; [unrolled: 1-line block ×3, first 2 shown]
	v_mov_b32_e32 v14, v32
	v_mov_b32_e32 v10, v34
	;; [unrolled: 1-line block ×3, first 2 shown]
	v_lshlrev_b64 v[13:14], 3, v[13:14]
	v_mad_u64_u32 v[40:41], null, s13, v29, v[10:11]
	v_mov_b32_e32 v10, v39
	v_add_co_u32 v41, s0, v45, v25
	v_add_co_ci_u32_e64 v42, s0, v46, v26, s0
	v_mad_u64_u32 v[25:26], null, s13, v43, v[10:11]
	v_mov_b32_e32 v34, v40
	v_lshlrev_b64 v[29:30], 3, v[30:31]
	v_add_co_u32 v31, s0, v45, v13
	v_add_co_ci_u32_e64 v32, s0, v46, v14, s0
	v_mov_b32_e32 v39, v25
	v_lshlrev_b64 v[13:14], 3, v[33:34]
	v_add_co_u32 v43, s0, v45, v29
	v_add_co_ci_u32_e64 v44, s0, v46, v30, s0
	v_lshlrev_b64 v[25:26], 3, v[38:39]
	v_add_co_u32 v37, s0, v45, v13
	v_add_co_ci_u32_e64 v38, s0, v46, v14, s0
	v_add_co_u32 v39, s0, v45, v25
	v_add_co_ci_u32_e64 v40, s0, v46, v26, s0
	s_clause 0x7
	global_load_dwordx2 v[13:14], v[21:22], off
	global_load_dwordx2 v[25:26], v[23:24], off
	;; [unrolled: 1-line block ×8, first 2 shown]
.LBB0_12:
	s_or_b32 exec_lo, exec_lo, s4
	v_mov_b32_e32 v37, v35
.LBB0_13:
	s_or_b32 exec_lo, exec_lo, s1
	v_mul_u32_u24_e32 v44, 0xa0, v36
	s_waitcnt vmcnt(5)
	v_sub_f32_e32 v36, v9, v30
	v_sub_f32_e32 v10, v8, v29
	s_waitcnt vmcnt(3)
	v_sub_f32_e32 v29, v11, v33
	v_sub_f32_e32 v33, v12, v34
	v_sub_f32_e32 v26, v7, v26
	v_fma_f32 v30, v9, 2.0, -v36
	s_waitcnt vmcnt(1)
	v_sub_f32_e32 v9, v20, v32
	v_sub_f32_e32 v32, v6, v25
	v_sub_f32_e32 v34, v17, v27
	v_sub_f32_e32 v27, v18, v28
	v_sub_f32_e32 v21, v4, v21
	s_waitcnt vmcnt(0)
	v_sub_f32_e32 v23, v15, v23
	v_sub_f32_e32 v31, v19, v31
	v_fma_f32 v6, v6, 2.0, -v32
	v_fma_f32 v7, v7, 2.0, -v26
	;; [unrolled: 1-line block ×3, first 2 shown]
	v_sub_f32_e32 v22, v5, v22
	v_sub_f32_e32 v24, v16, v24
	v_fma_f32 v18, v18, 2.0, -v27
	v_fma_f32 v28, v4, 2.0, -v21
	v_fma_f32 v15, v15, 2.0, -v23
	v_fma_f32 v19, v19, 2.0, -v31
	v_fma_f32 v5, v5, 2.0, -v22
	v_fma_f32 v16, v16, 2.0, -v24
	v_add_f32_e32 v31, v36, v31
	v_sub_f32_e32 v38, v6, v17
	v_sub_f32_e32 v41, v7, v18
	;; [unrolled: 1-line block ×5, first 2 shown]
	v_fma_f32 v17, v36, 2.0, -v31
	v_fma_f32 v4, v6, 2.0, -v38
	;; [unrolled: 1-line block ×3, first 2 shown]
	v_add_f32_e32 v6, v26, v34
	v_fma_f32 v7, v32, 2.0, -v45
	v_sub_f32_e32 v16, v5, v16
	v_add_f32_e32 v32, v22, v23
	v_fma_f32 v23, v28, 2.0, -v15
	v_fma_f32 v28, v21, 2.0, -v24
	;; [unrolled: 1-line block ×3, first 2 shown]
	v_sub_f32_e32 v9, v10, v9
	v_fma_f32 v26, v26, 2.0, -v6
	v_fma_f32 v5, v5, 2.0, -v16
	;; [unrolled: 1-line block ×3, first 2 shown]
	v_mul_f32_e32 v40, 0x3f3504f3, v17
	v_fmamk_f32 v17, v28, 0xbf3504f3, v7
	v_fma_f32 v8, v8, 2.0, -v10
	v_fma_f32 v10, v10, 2.0, -v9
	v_mul_f32_e32 v39, 0x3f3504f3, v9
	v_fmamk_f32 v18, v22, 0xbf3504f3, v26
	v_mul_f32_e32 v43, 0x3f3504f3, v31
	v_sub_f32_e32 v21, v4, v23
	v_sub_f32_e32 v42, v27, v5
	v_fmac_f32_e32 v17, 0xbf3504f3, v22
	v_fmamk_f32 v23, v24, 0x3f3504f3, v45
	v_fmamk_f32 v31, v32, 0x3f3504f3, v6
	v_sub_f32_e32 v5, v38, v16
	v_add_f32_e32 v9, v41, v15
	v_sub_f32_e32 v25, v30, v20
	v_mul_f32_e32 v20, 0x3f3504f3, v10
	v_fmac_f32_e32 v18, 0x3f3504f3, v28
	v_fma_f32 v22, v7, 2.0, -v17
	v_fmac_f32_e32 v23, 0xbf3504f3, v32
	v_fmac_f32_e32 v31, 0x3f3504f3, v24
	v_fma_f32 v7, v38, 2.0, -v5
	v_fma_f32 v10, v41, 2.0, -v9
	v_sub_f32_e32 v19, v8, v19
	v_fma_f32 v28, v26, 2.0, -v18
	v_fma_f32 v26, v45, 2.0, -v23
	v_fma_f32 v34, v6, 2.0, -v31
	v_mul_f32_e32 v32, 0x3f3504f3, v7
	v_mul_f32_e32 v38, 0x3f3504f3, v10
	;; [unrolled: 1-line block ×4, first 2 shown]
	v_cmp_gt_u32_e64 s0, 10, v35
	v_lshlrev_b32_e32 v24, 2, v44
	s_and_saveexec_b32 s1, s0
	s_cbranch_execz .LBB0_15
; %bb.14:
	v_sub_f32_e32 v5, v2, v13
	v_fma_f32 v6, v11, 2.0, -v29
	v_fma_f32 v13, v4, 2.0, -v21
	;; [unrolled: 1-line block ×3, first 2 shown]
	v_lshlrev_b32_e32 v48, 6, v35
	v_sub_f32_e32 v7, v5, v33
	v_fma_f32 v2, v2, 2.0, -v5
	v_fma_f32 v10, v5, 2.0, -v7
	v_add_f32_e32 v9, v7, v39
	v_sub_f32_e32 v6, v2, v6
	v_sub_f32_e32 v4, v10, v20
	;; [unrolled: 1-line block ×4, first 2 shown]
	v_fma_f32 v2, v2, 2.0, -v6
	v_sub_f32_e32 v16, v4, v40
	v_fma_f32 v46, v7, 2.0, -v11
	v_add_f32_e32 v9, v15, v36
	v_sub_f32_e32 v8, v2, v8
	v_fma_f32 v49, v6, 2.0, -v15
	v_fma_f32 v50, v10, 2.0, -v16
	v_fmamk_f32 v5, v23, 0x3f6c835e, v11
	v_fmamk_f32 v7, v17, 0x3ec3ef15, v16
	v_sub_f32_e32 v4, v9, v41
	v_sub_f32_e32 v6, v8, v42
	v_fmamk_f32 v9, v26, 0xbec3ef15, v46
	v_sub_f32_e32 v44, v49, v32
	v_fma_f32 v2, v2, 2.0, -v8
	v_fmamk_f32 v45, v22, 0xbf6c835e, v50
	v_fmac_f32_e32 v5, 0xbec3ef15, v31
	v_fmac_f32_e32 v7, 0xbf6c835e, v18
	v_fma_f32 v10, v15, 2.0, -v4
	v_fma_f32 v15, v8, 2.0, -v6
	v_fmac_f32_e32 v9, 0xbf6c835e, v34
	v_sub_f32_e32 v8, v44, v38
	v_sub_f32_e32 v44, v2, v13
	v_fmac_f32_e32 v45, 0xbec3ef15, v28
	v_fma_f32 v11, v11, 2.0, -v5
	v_fma_f32 v16, v16, 2.0, -v7
	v_add3_u32 v13, 0, v48, v24
	v_fma_f32 v47, v46, 2.0, -v9
	v_fma_f32 v46, v49, 2.0, -v8
	;; [unrolled: 1-line block ×4, first 2 shown]
	ds_write2_b64 v13, v[15:16], v[10:11] offset0:2 offset1:3
	ds_write2_b64 v13, v[44:45], v[8:9] offset0:4 offset1:5
	ds_write2_b64 v13, v[48:49], v[46:47] offset1:1
	ds_write2_b64 v13, v[6:7], v[4:5] offset0:6 offset1:7
.LBB0_15:
	s_or_b32 exec_lo, exec_lo, s1
	v_lshlrev_b32_e32 v2, 2, v35
	s_waitcnt lgkmcnt(0)
	s_barrier
	buffer_gl0_inv
	v_add_nc_u32_e32 v44, 0, v2
	v_add3_u32 v16, 0, v24, v2
	v_add_nc_u32_e32 v13, v44, v24
	ds_read2_b32 v[4:5], v13 offset0:16 offset1:32
	ds_read2_b32 v[10:11], v13 offset0:48 offset1:64
	;; [unrolled: 1-line block ×4, first 2 shown]
	ds_read_b32 v2, v16
	ds_read_b32 v15, v13 offset:576
	s_waitcnt lgkmcnt(0)
	s_barrier
	buffer_gl0_inv
	s_and_saveexec_b32 s1, s0
	s_cbranch_execz .LBB0_17
; %bb.16:
	v_sub_f32_e32 v14, v3, v14
	v_fma_f32 v12, v12, 2.0, -v33
	v_fma_f32 v25, v30, 2.0, -v25
	;; [unrolled: 1-line block ×3, first 2 shown]
	v_mul_u32_u24_e32 v42, 60, v35
	v_add_f32_e32 v29, v14, v29
	v_fma_f32 v3, v3, 2.0, -v14
	v_fma_f32 v14, v14, 2.0, -v29
	v_sub_f32_e32 v12, v3, v12
	v_add_f32_e32 v30, v29, v43
	v_sub_f32_e32 v33, v14, v40
	v_fma_f32 v3, v3, 2.0, -v12
	v_add_f32_e32 v40, v12, v19
	v_add_f32_e32 v39, v39, v30
	;; [unrolled: 1-line block ×3, first 2 shown]
	v_sub_f32_e32 v43, v3, v25
	v_fma_f32 v12, v12, 2.0, -v40
	v_fma_f32 v45, v29, 2.0, -v39
	v_add_f32_e32 v25, v40, v41
	v_fma_f32 v14, v14, 2.0, -v33
	v_fmamk_f32 v19, v31, 0x3f6c835e, v39
	v_fma_f32 v3, v3, 2.0, -v43
	v_add_f32_e32 v20, v43, v21
	v_fmamk_f32 v21, v18, 0x3ec3ef15, v33
	v_sub_f32_e32 v38, v12, v38
	v_fmamk_f32 v29, v34, 0xbec3ef15, v45
	v_fmamk_f32 v31, v28, 0xbf6c835e, v14
	v_add_f32_e32 v18, v36, v25
	v_fmac_f32_e32 v19, 0x3ec3ef15, v23
	v_sub_f32_e32 v30, v3, v27
	v_fmac_f32_e32 v21, 0x3f6c835e, v17
	v_add_f32_e32 v28, v32, v38
	v_fmac_f32_e32 v29, 0x3f6c835e, v26
	v_fmac_f32_e32 v31, 0x3ec3ef15, v22
	v_fma_f32 v23, v3, 2.0, -v30
	v_fma_f32 v32, v43, 2.0, -v20
	;; [unrolled: 1-line block ×5, first 2 shown]
	v_add3_u32 v3, v44, v42, v24
	v_fma_f32 v25, v12, 2.0, -v28
	v_fma_f32 v26, v45, 2.0, -v29
	;; [unrolled: 1-line block ×3, first 2 shown]
	ds_write2_b64 v3, v[32:33], v[38:39] offset0:2 offset1:3
	ds_write2_b64 v3, v[30:31], v[28:29] offset0:4 offset1:5
	ds_write2_b64 v3, v[23:24], v[25:26] offset1:1
	ds_write2_b64 v3, v[20:21], v[18:19] offset0:6 offset1:7
.LBB0_17:
	s_or_b32 exec_lo, exec_lo, s1
	s_waitcnt lgkmcnt(0)
	s_barrier
	buffer_gl0_inv
	s_and_saveexec_b32 s0, vcc_lo
	s_cbranch_execz .LBB0_19
; %bb.18:
	v_or_b32_e32 v14, 16, v37
	v_mad_u64_u32 v[33:34], null, s12, v37, 0
	v_mul_u32_u24_e32 v3, 9, v35
	v_or_b32_e32 v28, 32, v37
	v_mad_u64_u32 v[35:36], null, s12, v14, 0
	v_or_b32_e32 v29, 48, v37
	v_or_b32_e32 v30, 64, v37
	v_mad_u64_u32 v[38:39], null, s12, v28, 0
	v_lshlrev_b32_e32 v31, 3, v3
	v_mad_u64_u32 v[40:41], null, s12, v29, 0
	v_mov_b32_e32 v3, v34
	v_mov_b32_e32 v12, v36
	v_mad_u64_u32 v[42:43], null, s12, v30, 0
	s_clause 0x1
	global_load_dwordx4 v[17:20], v31, s[8:9]
	global_load_dwordx4 v[21:24], v31, s[8:9] offset:16
	v_mad_u64_u32 v[25:26], null, s13, v37, v[3:4]
	v_mov_b32_e32 v3, v39
	v_mad_u64_u32 v[26:27], null, s13, v14, v[12:13]
	v_or_b32_e32 v14, 0x50, v37
	v_mov_b32_e32 v12, v41
	v_mad_u64_u32 v[27:28], null, s13, v28, v[3:4]
	v_mov_b32_e32 v3, v43
	v_mad_u64_u32 v[44:45], null, s12, v14, 0
	v_mad_u64_u32 v[28:29], null, s13, v29, v[12:13]
	;; [unrolled: 1-line block ×3, first 2 shown]
	v_mov_b32_e32 v39, v27
	v_or_b32_e32 v27, 0x60, v37
	v_mov_b32_e32 v3, v45
	v_mov_b32_e32 v34, v25
	;; [unrolled: 1-line block ×3, first 2 shown]
	v_or_b32_e32 v28, 0x70, v37
	v_mov_b32_e32 v36, v26
	v_mad_u64_u32 v[48:49], null, s12, v27, 0
	v_mad_u64_u32 v[25:26], null, s13, v14, v[3:4]
	v_or_b32_e32 v14, 0x80, v37
	v_mov_b32_e32 v43, v29
	v_mad_u64_u32 v[50:51], null, s12, v28, 0
	v_or_b32_e32 v29, 0x90, v37
	v_mad_u64_u32 v[52:53], null, s12, v14, 0
	v_mov_b32_e32 v3, v49
	global_load_dwordx2 v[46:47], v31, s[8:9] offset:64
	v_mad_u64_u32 v[54:55], null, s12, v29, 0
	v_mov_b32_e32 v12, v51
	v_mad_u64_u32 v[56:57], null, s13, v27, v[3:4]
	v_mov_b32_e32 v3, v53
	v_mov_b32_e32 v45, v25
	v_mad_u64_u32 v[57:58], null, s13, v28, v[12:13]
	global_load_dwordx4 v[25:28], v31, s[8:9] offset:48
	v_mov_b32_e32 v12, v55
	v_mad_u64_u32 v[58:59], null, s13, v14, v[3:4]
	v_lshlrev_b64 v[0:1], 3, v[0:1]
	v_mov_b32_e32 v49, v56
	v_mad_u64_u32 v[59:60], null, s13, v29, v[12:13]
	global_load_dwordx4 v[29:32], v31, s[8:9] offset:32
	v_mov_b32_e32 v51, v57
	v_add_co_u32 v12, vcc_lo, s2, v0
	v_add_co_ci_u32_e32 v14, vcc_lo, s3, v1, vcc_lo
	v_lshlrev_b64 v[0:1], 3, v[33:34]
	v_lshlrev_b64 v[33:34], 3, v[35:36]
	;; [unrolled: 1-line block ×4, first 2 shown]
	ds_read2_b32 v[56:57], v13 offset0:48 offset1:64
	v_lshlrev_b64 v[39:40], 3, v[42:43]
	v_add_co_u32 v0, vcc_lo, v12, v0
	v_add_co_ci_u32_e32 v1, vcc_lo, v14, v1, vcc_lo
	v_add_co_u32 v33, vcc_lo, v12, v33
	v_add_co_ci_u32_e32 v34, vcc_lo, v14, v34, vcc_lo
	;; [unrolled: 2-line block ×3, first 2 shown]
	v_lshlrev_b64 v[41:42], 3, v[44:45]
	v_add_co_u32 v37, vcc_lo, v12, v37
	v_add_co_ci_u32_e32 v38, vcc_lo, v14, v38, vcc_lo
	v_lshlrev_b64 v[43:44], 3, v[48:49]
	v_add_co_u32 v39, vcc_lo, v12, v39
	v_mov_b32_e32 v53, v58
	v_add_co_ci_u32_e32 v40, vcc_lo, v14, v40, vcc_lo
	v_lshlrev_b64 v[48:49], 3, v[50:51]
	v_add_co_u32 v41, vcc_lo, v12, v41
	v_mov_b32_e32 v55, v59
	v_add_co_ci_u32_e32 v42, vcc_lo, v14, v42, vcc_lo
	v_lshlrev_b64 v[50:51], 3, v[52:53]
	v_add_co_u32 v43, vcc_lo, v12, v43
	v_add_co_ci_u32_e32 v44, vcc_lo, v14, v44, vcc_lo
	v_lshlrev_b64 v[52:53], 3, v[54:55]
	v_add_co_u32 v48, vcc_lo, v12, v48
	ds_read_b32 v3, v13 offset:576
	v_add_co_ci_u32_e32 v49, vcc_lo, v14, v49, vcc_lo
	v_add_co_u32 v50, vcc_lo, v12, v50
	v_add_co_ci_u32_e32 v51, vcc_lo, v14, v51, vcc_lo
	v_add_co_u32 v52, vcc_lo, v12, v52
	ds_read2_b32 v[60:61], v13 offset0:16 offset1:32
	ds_read2_b32 v[54:55], v13 offset0:80 offset1:96
	v_add_co_ci_u32_e32 v53, vcc_lo, v14, v53, vcc_lo
	s_waitcnt vmcnt(3) lgkmcnt(3)
	v_mul_f32_e32 v45, v57, v24
	v_mul_f32_e32 v58, v56, v22
	;; [unrolled: 1-line block ×4, first 2 shown]
	v_fma_f32 v14, v11, v23, -v45
	v_fma_f32 v24, v10, v21, -v58
	ds_read2_b32 v[10:11], v13 offset0:112 offset1:128
	ds_read_b32 v13, v16
	v_fmac_f32_e32 v22, v21, v56
	v_fmac_f32_e32 v12, v57, v23
	v_mul_f32_e32 v16, v5, v20
	s_waitcnt lgkmcnt(3)
	v_fmac_f32_e32 v16, v61, v19
	s_waitcnt vmcnt(2)
	v_mul_f32_e32 v21, v3, v47
	v_mul_f32_e32 v45, v15, v47
	v_fma_f32 v15, v15, v46, -v21
	v_fmac_f32_e32 v45, v46, v3
	v_mul_f32_e32 v3, v61, v20
	s_waitcnt vmcnt(1)
	v_mul_f32_e32 v23, v7, v28
	s_waitcnt lgkmcnt(1)
	v_mul_f32_e32 v20, v11, v28
	v_mul_f32_e32 v28, v10, v26
	v_fma_f32 v3, v5, v19, -v3
	v_sub_f32_e32 v5, v16, v12
	v_fmac_f32_e32 v23, v11, v27
	v_fma_f32 v7, v7, v27, -v20
	v_fma_f32 v20, v6, v25, -v28
	s_waitcnt vmcnt(0)
	v_mul_f32_e32 v47, v9, v32
	v_mul_f32_e32 v21, v54, v30
	;; [unrolled: 1-line block ×4, first 2 shown]
	v_sub_f32_e32 v26, v15, v20
	v_fmac_f32_e32 v47, v55, v31
	v_fma_f32 v21, v8, v29, -v21
	v_mul_f32_e32 v8, v8, v30
	v_mul_f32_e32 v30, v60, v18
	;; [unrolled: 1-line block ×3, first 2 shown]
	v_fmac_f32_e32 v6, v25, v10
	v_sub_f32_e32 v10, v23, v47
	v_fmac_f32_e32 v8, v29, v54
	v_fma_f32 v9, v9, v31, -v32
	v_fma_f32 v4, v4, v17, -v30
	v_fmac_f32_e32 v18, v17, v60
	v_sub_f32_e32 v25, v24, v21
	v_add_f32_e32 v27, v21, v20
	v_sub_f32_e32 v30, v22, v8
	v_sub_f32_e32 v31, v45, v6
	;; [unrolled: 1-line block ×6, first 2 shown]
	v_add_f32_e32 v5, v5, v10
	v_add_f32_e32 v10, v24, v15
	;; [unrolled: 1-line block ×4, first 2 shown]
	v_sub_f32_e32 v28, v22, v45
	v_sub_f32_e32 v46, v24, v15
	v_add_f32_e32 v54, v8, v6
	v_add_f32_e32 v25, v25, v26
	v_sub_f32_e32 v26, v8, v22
	v_add_f32_e32 v30, v30, v31
	v_sub_f32_e32 v31, v6, v45
	v_add_f32_e32 v55, v55, v56
	v_add_f32_e32 v56, v22, v45
	;; [unrolled: 1-line block ×4, first 2 shown]
	v_sub_f32_e32 v59, v3, v14
	v_add_f32_e32 v24, v24, v4
	v_fma_f32 v27, -0.5, v27, v4
	v_fma_f32 v10, -0.5, v10, v4
	v_sub_f32_e32 v4, v7, v9
	s_waitcnt lgkmcnt(0)
	v_fma_f32 v19, -0.5, v19, v13
	v_fma_f32 v57, -0.5, v57, v13
	v_add_f32_e32 v13, v16, v13
	v_sub_f32_e32 v17, v3, v7
	v_sub_f32_e32 v29, v8, v6
	v_add_f32_e32 v26, v26, v31
	v_add_f32_e32 v31, v14, v9
	v_fma_f32 v54, -0.5, v54, v18
	v_fma_f32 v18, -0.5, v56, v18
	v_sub_f32_e32 v56, v14, v3
	v_add_f32_e32 v8, v8, v22
	v_sub_f32_e32 v22, v9, v7
	v_add_f32_e32 v4, v59, v4
	v_add_f32_e32 v59, v3, v7
	;; [unrolled: 1-line block ×3, first 2 shown]
	v_sub_f32_e32 v32, v21, v20
	v_add_f32_e32 v13, v12, v13
	v_fma_f32 v31, -0.5, v31, v2
	v_add_f32_e32 v22, v56, v22
	v_fma_f32 v56, -0.5, v59, v2
	v_add_f32_e32 v2, v3, v14
	v_add_f32_e32 v3, v21, v24
	v_fmamk_f32 v21, v28, 0xbf737871, v27
	v_fmamk_f32 v24, v46, 0x3f737871, v54
	v_fmac_f32_e32 v54, 0xbf737871, v46
	v_fmac_f32_e32 v27, 0x3f737871, v28
	v_sub_f32_e32 v16, v16, v23
	v_sub_f32_e32 v12, v12, v47
	v_add_f32_e32 v13, v47, v13
	v_fmamk_f32 v47, v29, 0x3f737871, v10
	v_add_f32_e32 v6, v6, v8
	v_fmamk_f32 v8, v32, 0xbf737871, v18
	v_fmac_f32_e32 v18, 0x3f737871, v32
	v_fmac_f32_e32 v10, 0xbf737871, v29
	v_fmac_f32_e32 v54, 0xbf167918, v32
	v_fmac_f32_e32 v27, 0x3f167918, v29
	v_sub_f32_e32 v11, v14, v9
	v_fmamk_f32 v14, v17, 0x3f737871, v19
	v_fmac_f32_e32 v19, 0xbf737871, v17
	v_add_f32_e32 v2, v2, v9
	v_fmamk_f32 v60, v16, 0xbf737871, v31
	v_add_f32_e32 v3, v20, v3
	v_fmamk_f32 v20, v12, 0x3f737871, v56
	v_fmac_f32_e32 v56, 0xbf737871, v12
	v_fmac_f32_e32 v31, 0x3f737871, v16
	;; [unrolled: 1-line block ×10, first 2 shown]
	v_fmamk_f32 v59, v11, 0xbf737871, v57
	v_fmac_f32_e32 v57, 0x3f737871, v11
	v_fmac_f32_e32 v14, 0x3f167918, v11
	;; [unrolled: 1-line block ×3, first 2 shown]
	v_add_f32_e32 v9, v23, v13
	v_add_f32_e32 v6, v45, v6
	v_fmac_f32_e32 v60, 0xbf167918, v12
	v_fmac_f32_e32 v20, 0xbf167918, v16
	;; [unrolled: 1-line block ×4, first 2 shown]
	v_add_f32_e32 v7, v7, v2
	v_add_f32_e32 v11, v15, v3
	v_fmac_f32_e32 v24, 0x3e9e377a, v30
	v_fmac_f32_e32 v8, 0x3e9e377a, v26
	;; [unrolled: 1-line block ×6, first 2 shown]
	v_mul_f32_e32 v16, 0xbf167918, v27
	v_mul_f32_e32 v23, 0x3f167918, v54
	v_fmac_f32_e32 v59, 0x3f167918, v17
	v_fmac_f32_e32 v57, 0xbf167918, v17
	;; [unrolled: 1-line block ×4, first 2 shown]
	v_sub_f32_e32 v3, v9, v6
	v_fmac_f32_e32 v60, 0x3e9e377a, v4
	v_fmac_f32_e32 v20, 0x3e9e377a, v22
	;; [unrolled: 1-line block ×4, first 2 shown]
	v_sub_f32_e32 v2, v7, v11
	v_add_f32_e32 v5, v9, v6
	v_add_f32_e32 v4, v7, v11
	v_mul_f32_e32 v6, 0x3f4f1bbd, v24
	v_mul_f32_e32 v7, 0x3e9e377a, v8
	;; [unrolled: 1-line block ×6, first 2 shown]
	v_fmac_f32_e32 v16, 0x3f4f1bbd, v54
	v_fmac_f32_e32 v23, 0x3f4f1bbd, v27
	;; [unrolled: 1-line block ×4, first 2 shown]
	v_fma_f32 v13, 0xbf167918, v21, -v6
	v_fma_f32 v15, 0xbf737871, v47, -v7
	v_fmac_f32_e32 v12, 0x3e9e377a, v18
	v_fmac_f32_e32 v22, 0x3e9e377a, v10
	v_fma_f32 v8, 0x3f737871, v8, -v11
	v_fma_f32 v18, 0x3f167918, v24, -v9
	v_sub_f32_e32 v9, v19, v16
	v_add_f32_e32 v17, v19, v16
	v_add_f32_e32 v16, v31, v23
	global_store_dwordx2 v[0:1], v[4:5], off
	v_sub_f32_e32 v1, v14, v13
	v_sub_f32_e32 v5, v59, v15
	v_add_f32_e32 v11, v14, v13
	v_add_f32_e32 v13, v59, v15
	;; [unrolled: 1-line block ×4, first 2 shown]
	v_sub_f32_e32 v7, v57, v12
	v_add_f32_e32 v12, v20, v8
	v_add_f32_e32 v10, v60, v18
	v_sub_f32_e32 v0, v60, v18
	v_sub_f32_e32 v4, v20, v8
	;; [unrolled: 1-line block ×4, first 2 shown]
	global_store_dwordx2 v[33:34], v[16:17], off
	global_store_dwordx2 v[35:36], v[14:15], off
	global_store_dwordx2 v[37:38], v[12:13], off
	global_store_dwordx2 v[39:40], v[10:11], off
	global_store_dwordx2 v[41:42], v[2:3], off
	global_store_dwordx2 v[43:44], v[8:9], off
	global_store_dwordx2 v[48:49], v[6:7], off
	global_store_dwordx2 v[50:51], v[4:5], off
	global_store_dwordx2 v[52:53], v[0:1], off
.LBB0_19:
	s_endpgm
	.section	.rodata,"a",@progbits
	.p2align	6, 0x0
	.amdhsa_kernel fft_rtc_fwd_len160_factors_16_10_wgs_256_tpt_16_halfLds_sp_ip_CI_sbrr_dirReg
		.amdhsa_group_segment_fixed_size 0
		.amdhsa_private_segment_fixed_size 0
		.amdhsa_kernarg_size 88
		.amdhsa_user_sgpr_count 6
		.amdhsa_user_sgpr_private_segment_buffer 1
		.amdhsa_user_sgpr_dispatch_ptr 0
		.amdhsa_user_sgpr_queue_ptr 0
		.amdhsa_user_sgpr_kernarg_segment_ptr 1
		.amdhsa_user_sgpr_dispatch_id 0
		.amdhsa_user_sgpr_flat_scratch_init 0
		.amdhsa_user_sgpr_private_segment_size 0
		.amdhsa_wavefront_size32 1
		.amdhsa_uses_dynamic_stack 0
		.amdhsa_system_sgpr_private_segment_wavefront_offset 0
		.amdhsa_system_sgpr_workgroup_id_x 1
		.amdhsa_system_sgpr_workgroup_id_y 0
		.amdhsa_system_sgpr_workgroup_id_z 0
		.amdhsa_system_sgpr_workgroup_info 0
		.amdhsa_system_vgpr_workitem_id 0
		.amdhsa_next_free_vgpr 62
		.amdhsa_next_free_sgpr 23
		.amdhsa_reserve_vcc 1
		.amdhsa_reserve_flat_scratch 0
		.amdhsa_float_round_mode_32 0
		.amdhsa_float_round_mode_16_64 0
		.amdhsa_float_denorm_mode_32 3
		.amdhsa_float_denorm_mode_16_64 3
		.amdhsa_dx10_clamp 1
		.amdhsa_ieee_mode 1
		.amdhsa_fp16_overflow 0
		.amdhsa_workgroup_processor_mode 1
		.amdhsa_memory_ordered 1
		.amdhsa_forward_progress 0
		.amdhsa_shared_vgpr_count 0
		.amdhsa_exception_fp_ieee_invalid_op 0
		.amdhsa_exception_fp_denorm_src 0
		.amdhsa_exception_fp_ieee_div_zero 0
		.amdhsa_exception_fp_ieee_overflow 0
		.amdhsa_exception_fp_ieee_underflow 0
		.amdhsa_exception_fp_ieee_inexact 0
		.amdhsa_exception_int_div_zero 0
	.end_amdhsa_kernel
	.text
.Lfunc_end0:
	.size	fft_rtc_fwd_len160_factors_16_10_wgs_256_tpt_16_halfLds_sp_ip_CI_sbrr_dirReg, .Lfunc_end0-fft_rtc_fwd_len160_factors_16_10_wgs_256_tpt_16_halfLds_sp_ip_CI_sbrr_dirReg
                                        ; -- End function
	.section	.AMDGPU.csdata,"",@progbits
; Kernel info:
; codeLenInByte = 5392
; NumSgprs: 25
; NumVgprs: 62
; ScratchSize: 0
; MemoryBound: 0
; FloatMode: 240
; IeeeMode: 1
; LDSByteSize: 0 bytes/workgroup (compile time only)
; SGPRBlocks: 3
; VGPRBlocks: 7
; NumSGPRsForWavesPerEU: 25
; NumVGPRsForWavesPerEU: 62
; Occupancy: 16
; WaveLimiterHint : 1
; COMPUTE_PGM_RSRC2:SCRATCH_EN: 0
; COMPUTE_PGM_RSRC2:USER_SGPR: 6
; COMPUTE_PGM_RSRC2:TRAP_HANDLER: 0
; COMPUTE_PGM_RSRC2:TGID_X_EN: 1
; COMPUTE_PGM_RSRC2:TGID_Y_EN: 0
; COMPUTE_PGM_RSRC2:TGID_Z_EN: 0
; COMPUTE_PGM_RSRC2:TIDIG_COMP_CNT: 0
	.text
	.p2alignl 6, 3214868480
	.fill 48, 4, 3214868480
	.type	__hip_cuid_196665e6e3a528ed,@object ; @__hip_cuid_196665e6e3a528ed
	.section	.bss,"aw",@nobits
	.globl	__hip_cuid_196665e6e3a528ed
__hip_cuid_196665e6e3a528ed:
	.byte	0                               ; 0x0
	.size	__hip_cuid_196665e6e3a528ed, 1

	.ident	"AMD clang version 19.0.0git (https://github.com/RadeonOpenCompute/llvm-project roc-6.4.0 25133 c7fe45cf4b819c5991fe208aaa96edf142730f1d)"
	.section	".note.GNU-stack","",@progbits
	.addrsig
	.addrsig_sym __hip_cuid_196665e6e3a528ed
	.amdgpu_metadata
---
amdhsa.kernels:
  - .args:
      - .actual_access:  read_only
        .address_space:  global
        .offset:         0
        .size:           8
        .value_kind:     global_buffer
      - .offset:         8
        .size:           8
        .value_kind:     by_value
      - .actual_access:  read_only
        .address_space:  global
        .offset:         16
        .size:           8
        .value_kind:     global_buffer
      - .actual_access:  read_only
        .address_space:  global
        .offset:         24
        .size:           8
        .value_kind:     global_buffer
      - .offset:         32
        .size:           8
        .value_kind:     by_value
      - .actual_access:  read_only
        .address_space:  global
        .offset:         40
        .size:           8
        .value_kind:     global_buffer
      - .actual_access:  read_only
        .address_space:  global
        .offset:         48
        .size:           8
        .value_kind:     global_buffer
      - .offset:         56
        .size:           4
        .value_kind:     by_value
      - .actual_access:  read_only
        .address_space:  global
        .offset:         64
        .size:           8
        .value_kind:     global_buffer
      - .actual_access:  read_only
        .address_space:  global
        .offset:         72
        .size:           8
        .value_kind:     global_buffer
      - .address_space:  global
        .offset:         80
        .size:           8
        .value_kind:     global_buffer
    .group_segment_fixed_size: 0
    .kernarg_segment_align: 8
    .kernarg_segment_size: 88
    .language:       OpenCL C
    .language_version:
      - 2
      - 0
    .max_flat_workgroup_size: 256
    .name:           fft_rtc_fwd_len160_factors_16_10_wgs_256_tpt_16_halfLds_sp_ip_CI_sbrr_dirReg
    .private_segment_fixed_size: 0
    .sgpr_count:     25
    .sgpr_spill_count: 0
    .symbol:         fft_rtc_fwd_len160_factors_16_10_wgs_256_tpt_16_halfLds_sp_ip_CI_sbrr_dirReg.kd
    .uniform_work_group_size: 1
    .uses_dynamic_stack: false
    .vgpr_count:     62
    .vgpr_spill_count: 0
    .wavefront_size: 32
    .workgroup_processor_mode: 1
amdhsa.target:   amdgcn-amd-amdhsa--gfx1030
amdhsa.version:
  - 1
  - 2
...

	.end_amdgpu_metadata
